;; amdgpu-corpus repo=ROCm/rocFFT kind=compiled arch=gfx950 opt=O3
	.text
	.amdgcn_target "amdgcn-amd-amdhsa--gfx950"
	.amdhsa_code_object_version 6
	.protected	fft_rtc_back_len1215_factors_5_3_3_3_3_3_wgs_243_tpt_243_halfLds_sp_op_CI_CI_sbrr_dirReg ; -- Begin function fft_rtc_back_len1215_factors_5_3_3_3_3_3_wgs_243_tpt_243_halfLds_sp_op_CI_CI_sbrr_dirReg
	.globl	fft_rtc_back_len1215_factors_5_3_3_3_3_3_wgs_243_tpt_243_halfLds_sp_op_CI_CI_sbrr_dirReg
	.p2align	8
	.type	fft_rtc_back_len1215_factors_5_3_3_3_3_3_wgs_243_tpt_243_halfLds_sp_op_CI_CI_sbrr_dirReg,@function
fft_rtc_back_len1215_factors_5_3_3_3_3_3_wgs_243_tpt_243_halfLds_sp_op_CI_CI_sbrr_dirReg: ; @fft_rtc_back_len1215_factors_5_3_3_3_3_3_wgs_243_tpt_243_halfLds_sp_op_CI_CI_sbrr_dirReg
; %bb.0:
	s_load_dwordx4 s[12:15], s[0:1], 0x18
	s_load_dwordx4 s[8:11], s[0:1], 0x0
	;; [unrolled: 1-line block ×3, first 2 shown]
	v_mul_u32_u24_e32 v1, 0x10e, v0
	v_add_u32_sdwa v10, s2, v1 dst_sel:DWORD dst_unused:UNUSED_PAD src0_sel:DWORD src1_sel:WORD_1
	s_waitcnt lgkmcnt(0)
	s_load_dwordx2 s[18:19], s[12:13], 0x0
	s_load_dwordx2 s[16:17], s[14:15], 0x0
	v_mov_b32_e32 v8, 0
	v_cmp_lt_u64_e64 s[2:3], s[10:11], 2
	v_mov_b32_e32 v11, v8
	s_and_b64 vcc, exec, s[2:3]
	v_mov_b64_e32 v[6:7], 0
	s_cbranch_vccnz .LBB0_8
; %bb.1:
	s_load_dwordx2 s[2:3], s[0:1], 0x10
	s_add_u32 s20, s14, 8
	s_addc_u32 s21, s15, 0
	s_add_u32 s22, s12, 8
	s_addc_u32 s23, s13, 0
	s_waitcnt lgkmcnt(0)
	s_add_u32 s24, s2, 8
	v_mov_b64_e32 v[6:7], 0
	s_addc_u32 s25, s3, 0
	s_mov_b64 s[26:27], 1
	v_mov_b64_e32 v[2:3], v[6:7]
.LBB0_2:                                ; =>This Inner Loop Header: Depth=1
	s_load_dwordx2 s[28:29], s[24:25], 0x0
                                        ; implicit-def: $vgpr4_vgpr5
	s_waitcnt lgkmcnt(0)
	v_or_b32_e32 v9, s29, v11
	v_cmp_ne_u64_e32 vcc, 0, v[8:9]
	s_and_saveexec_b64 s[2:3], vcc
	s_xor_b64 s[30:31], exec, s[2:3]
	s_cbranch_execz .LBB0_4
; %bb.3:                                ;   in Loop: Header=BB0_2 Depth=1
	v_cvt_f32_u32_e32 v1, s28
	v_cvt_f32_u32_e32 v4, s29
	s_sub_u32 s2, 0, s28
	s_subb_u32 s3, 0, s29
	v_fmac_f32_e32 v1, 0x4f800000, v4
	v_rcp_f32_e32 v1, v1
	s_nop 0
	v_mul_f32_e32 v1, 0x5f7ffffc, v1
	v_mul_f32_e32 v4, 0x2f800000, v1
	v_trunc_f32_e32 v4, v4
	v_fmac_f32_e32 v1, 0xcf800000, v4
	v_cvt_u32_f32_e32 v9, v4
	v_cvt_u32_f32_e32 v1, v1
	v_mul_lo_u32 v4, s2, v9
	v_mul_hi_u32 v12, s2, v1
	v_mul_lo_u32 v5, s3, v1
	v_add_u32_e32 v12, v12, v4
	v_mul_lo_u32 v14, s2, v1
	v_add_u32_e32 v15, v12, v5
	v_mul_hi_u32 v4, v1, v14
	v_mul_hi_u32 v13, v1, v15
	v_mul_lo_u32 v12, v1, v15
	v_mov_b32_e32 v5, v8
	v_lshl_add_u64 v[4:5], v[4:5], 0, v[12:13]
	v_mul_hi_u32 v13, v9, v14
	v_mul_lo_u32 v14, v9, v14
	v_add_co_u32_e32 v4, vcc, v4, v14
	v_mul_hi_u32 v12, v9, v15
	s_nop 0
	v_addc_co_u32_e32 v4, vcc, v5, v13, vcc
	v_mov_b32_e32 v5, v8
	s_nop 0
	v_addc_co_u32_e32 v13, vcc, 0, v12, vcc
	v_mul_lo_u32 v12, v9, v15
	v_lshl_add_u64 v[4:5], v[4:5], 0, v[12:13]
	v_add_co_u32_e32 v1, vcc, v1, v4
	v_mul_lo_u32 v12, s2, v1
	s_nop 0
	v_addc_co_u32_e32 v9, vcc, v9, v5, vcc
	v_mul_lo_u32 v4, s2, v9
	v_mul_hi_u32 v5, s2, v1
	v_add_u32_e32 v4, v5, v4
	v_mul_lo_u32 v5, s3, v1
	v_add_u32_e32 v14, v4, v5
	v_mul_hi_u32 v16, v9, v12
	v_mul_lo_u32 v17, v9, v12
	v_mul_hi_u32 v5, v1, v14
	v_mul_lo_u32 v4, v1, v14
	v_mul_hi_u32 v12, v1, v12
	v_mov_b32_e32 v13, v8
	v_lshl_add_u64 v[4:5], v[12:13], 0, v[4:5]
	v_add_co_u32_e32 v4, vcc, v4, v17
	v_mul_hi_u32 v15, v9, v14
	s_nop 0
	v_addc_co_u32_e32 v4, vcc, v5, v16, vcc
	v_mul_lo_u32 v12, v9, v14
	s_nop 0
	v_addc_co_u32_e32 v13, vcc, 0, v15, vcc
	v_mov_b32_e32 v5, v8
	v_lshl_add_u64 v[4:5], v[4:5], 0, v[12:13]
	v_add_co_u32_e32 v1, vcc, v1, v4
	v_mul_hi_u32 v12, v10, v1
	s_nop 0
	v_addc_co_u32_e32 v9, vcc, v9, v5, vcc
	v_mad_u64_u32 v[4:5], s[2:3], v10, v9, 0
	v_mov_b32_e32 v13, v8
	v_lshl_add_u64 v[4:5], v[12:13], 0, v[4:5]
	v_mad_u64_u32 v[14:15], s[2:3], v11, v1, 0
	v_add_co_u32_e32 v1, vcc, v4, v14
	v_mad_u64_u32 v[12:13], s[2:3], v11, v9, 0
	s_nop 0
	v_addc_co_u32_e32 v4, vcc, v5, v15, vcc
	v_mov_b32_e32 v5, v8
	s_nop 0
	v_addc_co_u32_e32 v13, vcc, 0, v13, vcc
	v_lshl_add_u64 v[4:5], v[4:5], 0, v[12:13]
	v_mul_lo_u32 v1, s29, v4
	v_mul_lo_u32 v9, s28, v5
	v_mad_u64_u32 v[12:13], s[2:3], s28, v4, 0
	v_add3_u32 v1, v13, v9, v1
	v_sub_u32_e32 v9, v11, v1
	v_mov_b32_e32 v13, s29
	v_sub_co_u32_e32 v16, vcc, v10, v12
	v_lshl_add_u64 v[14:15], v[4:5], 0, 1
	s_nop 0
	v_subb_co_u32_e64 v9, s[2:3], v9, v13, vcc
	v_subrev_co_u32_e64 v12, s[2:3], s28, v16
	v_subb_co_u32_e32 v1, vcc, v11, v1, vcc
	s_nop 0
	v_subbrev_co_u32_e64 v9, s[2:3], 0, v9, s[2:3]
	v_cmp_le_u32_e64 s[2:3], s29, v9
	v_cmp_le_u32_e32 vcc, s29, v1
	s_nop 0
	v_cndmask_b32_e64 v13, 0, -1, s[2:3]
	v_cmp_le_u32_e64 s[2:3], s28, v12
	s_nop 1
	v_cndmask_b32_e64 v12, 0, -1, s[2:3]
	v_cmp_eq_u32_e64 s[2:3], s29, v9
	s_nop 1
	v_cndmask_b32_e64 v9, v13, v12, s[2:3]
	v_lshl_add_u64 v[12:13], v[4:5], 0, 2
	v_cmp_ne_u32_e64 s[2:3], 0, v9
	s_nop 1
	v_cndmask_b32_e64 v9, v15, v13, s[2:3]
	v_cndmask_b32_e64 v13, 0, -1, vcc
	v_cmp_le_u32_e32 vcc, s28, v16
	s_nop 1
	v_cndmask_b32_e64 v15, 0, -1, vcc
	v_cmp_eq_u32_e32 vcc, s29, v1
	s_nop 1
	v_cndmask_b32_e32 v1, v13, v15, vcc
	v_cmp_ne_u32_e32 vcc, 0, v1
	v_cndmask_b32_e64 v1, v14, v12, s[2:3]
	s_nop 0
	v_cndmask_b32_e32 v5, v5, v9, vcc
	v_cndmask_b32_e32 v4, v4, v1, vcc
.LBB0_4:                                ;   in Loop: Header=BB0_2 Depth=1
	s_andn2_saveexec_b64 s[2:3], s[30:31]
	s_cbranch_execz .LBB0_6
; %bb.5:                                ;   in Loop: Header=BB0_2 Depth=1
	v_cvt_f32_u32_e32 v1, s28
	s_sub_i32 s30, 0, s28
	v_rcp_iflag_f32_e32 v1, v1
	s_nop 0
	v_mul_f32_e32 v1, 0x4f7ffffe, v1
	v_cvt_u32_f32_e32 v1, v1
	v_mul_lo_u32 v4, s30, v1
	v_mul_hi_u32 v4, v1, v4
	v_add_u32_e32 v1, v1, v4
	v_mul_hi_u32 v1, v10, v1
	v_mul_lo_u32 v4, v1, s28
	v_sub_u32_e32 v4, v10, v4
	v_add_u32_e32 v5, 1, v1
	v_subrev_u32_e32 v9, s28, v4
	v_cmp_le_u32_e32 vcc, s28, v4
	s_nop 1
	v_cndmask_b32_e32 v4, v4, v9, vcc
	v_cndmask_b32_e32 v1, v1, v5, vcc
	v_add_u32_e32 v5, 1, v1
	v_cmp_le_u32_e32 vcc, s28, v4
	s_nop 1
	v_cndmask_b32_e32 v4, v1, v5, vcc
	v_mov_b32_e32 v5, v8
.LBB0_6:                                ;   in Loop: Header=BB0_2 Depth=1
	s_or_b64 exec, exec, s[2:3]
	v_mad_u64_u32 v[12:13], s[2:3], v4, s28, 0
	s_load_dwordx2 s[2:3], s[22:23], 0x0
	v_mul_lo_u32 v1, v5, s28
	v_mul_lo_u32 v9, v4, s29
	s_load_dwordx2 s[28:29], s[20:21], 0x0
	s_add_u32 s26, s26, 1
	v_add3_u32 v1, v13, v9, v1
	v_sub_co_u32_e32 v9, vcc, v10, v12
	s_addc_u32 s27, s27, 0
	s_nop 0
	v_subb_co_u32_e32 v1, vcc, v11, v1, vcc
	s_add_u32 s20, s20, 8
	s_waitcnt lgkmcnt(0)
	v_mul_lo_u32 v10, s2, v1
	v_mul_lo_u32 v11, s3, v9
	v_mad_u64_u32 v[6:7], s[2:3], s2, v9, v[6:7]
	s_addc_u32 s21, s21, 0
	v_add3_u32 v7, v11, v7, v10
	v_mul_lo_u32 v1, s28, v1
	v_mul_lo_u32 v10, s29, v9
	v_mad_u64_u32 v[2:3], s[2:3], s28, v9, v[2:3]
	s_add_u32 s22, s22, 8
	v_add3_u32 v3, v10, v3, v1
	s_addc_u32 s23, s23, 0
	v_mov_b64_e32 v[10:11], s[10:11]
	s_add_u32 s24, s24, 8
	v_cmp_ge_u64_e32 vcc, s[26:27], v[10:11]
	s_addc_u32 s25, s25, 0
	s_cbranch_vccnz .LBB0_9
; %bb.7:                                ;   in Loop: Header=BB0_2 Depth=1
	v_mov_b64_e32 v[10:11], v[4:5]
	s_branch .LBB0_2
.LBB0_8:
	v_mov_b64_e32 v[2:3], v[6:7]
	v_mov_b64_e32 v[4:5], v[10:11]
.LBB0_9:
	s_load_dwordx2 s[0:1], s[0:1], 0x28
	s_lshl_b64 s[10:11], s[10:11], 3
	s_add_u32 s2, s14, s10
	s_addc_u32 s3, s15, s11
                                        ; implicit-def: $vgpr19
                                        ; implicit-def: $vgpr24
	s_waitcnt lgkmcnt(0)
	v_cmp_gt_u64_e32 vcc, s[0:1], v[4:5]
	v_cmp_le_u64_e64 s[0:1], s[0:1], v[4:5]
	s_and_saveexec_b64 s[14:15], s[0:1]
	s_xor_b64 s[0:1], exec, s[14:15]
; %bb.10:
	s_mov_b32 s14, 0x10db20b
	v_mul_hi_u32 v1, v0, s14
	v_mul_u32_u24_e32 v1, 0xf3, v1
	v_sub_u32_e32 v19, v0, v1
	v_add_u32_e32 v24, 0xf3, v19
                                        ; implicit-def: $vgpr0
                                        ; implicit-def: $vgpr6_vgpr7
; %bb.11:
	s_or_saveexec_b64 s[0:1], s[0:1]
                                        ; implicit-def: $vgpr10
                                        ; implicit-def: $vgpr14
                                        ; implicit-def: $vgpr8
                                        ; implicit-def: $vgpr12
                                        ; implicit-def: $vgpr16
	s_xor_b64 exec, exec, s[0:1]
	s_cbranch_execz .LBB0_13
; %bb.12:
	s_add_u32 s10, s12, s10
	s_addc_u32 s11, s13, s11
	s_load_dwordx2 s[10:11], s[10:11], 0x0
	s_mov_b32 s12, 0x10db20b
	s_waitcnt lgkmcnt(0)
	v_mul_lo_u32 v1, s11, v4
	v_mul_lo_u32 v10, s10, v5
	v_mad_u64_u32 v[8:9], s[10:11], s10, v4, 0
	v_add3_u32 v9, v9, v10, v1
	v_mul_hi_u32 v1, v0, s12
	v_mul_u32_u24_e32 v1, 0xf3, v1
	v_sub_u32_e32 v19, v0, v1
	v_lshl_add_u64 v[8:9], v[8:9], 3, s[4:5]
	v_add_u32_e32 v24, 0xf3, v19
	v_lshl_add_u64 v[6:7], v[6:7], 3, v[8:9]
	v_mad_u64_u32 v[8:9], s[4:5], s18, v24, 0
	v_mov_b32_e32 v12, v9
	v_mad_u64_u32 v[0:1], s[10:11], s18, v19, 0
	v_mad_u64_u32 v[12:13], s[4:5], s19, v24, v[12:13]
	v_mov_b32_e32 v10, v1
	v_mov_b32_e32 v9, v12
	v_add_u32_e32 v1, 0x1e6, v19
	v_lshl_add_u64 v[14:15], v[8:9], 3, v[6:7]
	v_mad_u64_u32 v[8:9], s[4:5], s18, v1, 0
	v_mov_b32_e32 v12, v9
	v_mad_u64_u32 v[12:13], s[4:5], s19, v1, v[12:13]
	v_mov_b32_e32 v9, v12
	v_add_u32_e32 v1, 0x2d9, v19
	v_lshl_add_u64 v[16:17], v[8:9], 3, v[6:7]
	v_mad_u64_u32 v[8:9], s[4:5], s18, v1, 0
	v_mov_b32_e32 v12, v9
	v_mad_u64_u32 v[12:13], s[4:5], s19, v1, v[12:13]
	v_mov_b32_e32 v9, v12
	v_add_u32_e32 v1, 0x3cc, v19
	v_lshl_add_u64 v[20:21], v[8:9], 3, v[6:7]
	global_load_dwordx2 v[22:23], v[14:15], off
	global_load_dwordx2 v[8:9], v[16:17], off
	;; [unrolled: 1-line block ×3, first 2 shown]
	v_mad_u64_u32 v[14:15], s[4:5], s18, v1, 0
	v_mov_b32_e32 v16, v15
	v_mad_u64_u32 v[16:17], s[4:5], s19, v1, v[16:17]
	v_mov_b32_e32 v15, v16
	v_mad_u64_u32 v[10:11], s[4:5], s19, v19, v[10:11]
	v_lshl_add_u64 v[14:15], v[14:15], 3, v[6:7]
	v_mov_b32_e32 v1, v10
	global_load_dwordx2 v[20:21], v[14:15], off
	v_lshl_add_u64 v[0:1], v[0:1], 3, v[6:7]
	global_load_dwordx2 v[16:17], v[0:1], off
	s_waitcnt vmcnt(4)
	v_mov_b32_e32 v15, v23
	s_waitcnt vmcnt(3)
	v_mov_b32_e32 v14, v9
	;; [unrolled: 2-line block ×3, first 2 shown]
	v_mov_b32_e32 v9, v22
	s_waitcnt vmcnt(1)
	v_mov_b32_e32 v11, v21
	v_mov_b32_e32 v13, v20
.LBB0_13:
	s_or_b64 exec, exec, s[0:1]
	v_pk_add_f32 v[22:23], v[14:15], v[10:11] neg_lo:[0,1] neg_hi:[0,1]
	v_pk_add_f32 v[26:27], v[12:13], v[8:9]
	s_mov_b32 s0, 0x3f737871
	v_mov_b32_e32 v0, v9
	v_mov_b32_e32 v1, v8
	;; [unrolled: 1-line block ×4, first 2 shown]
	s_waitcnt vmcnt(0)
	v_pk_fma_f32 v[26:27], -0.5, v[26:27], v[16:17] op_sel_hi:[0,1,0]
	v_pk_mul_f32 v[28:29], v[22:23], s[0:1] op_sel_hi:[1,0]
	s_mov_b32 s0, 0x3f167918
	v_pk_add_f32 v[30:31], v[26:27], v[28:29] op_sel:[0,1] op_sel_hi:[1,0] neg_lo:[0,1] neg_hi:[0,1]
	v_pk_mul_f32 v[32:33], v[22:23], s[0:1] op_sel_hi:[1,0]
	v_pk_add_f32 v[0:1], v[0:1], v[8:9] neg_lo:[0,1] neg_hi:[0,1]
	v_pk_add_f32 v[20:21], v[20:21], v[12:13] neg_lo:[0,1] neg_hi:[0,1]
	v_pk_add_f32 v[26:27], v[28:29], v[26:27] op_sel:[1,0] op_sel_hi:[0,1]
	s_load_dwordx2 s[10:11], s[2:3], 0x0
	v_mov_b32_e32 v6, v9
	v_pk_add_f32 v[0:1], v[20:21], v[0:1]
	s_mov_b32 s2, 0x3e9e377a
	v_sub_f32_e32 v18, v27, v33
	v_mov_b32_e32 v27, v31
	v_pk_add_f32 v[6:7], v[6:7], v[16:17]
	v_pk_mul_f32 v[20:21], v[0:1], s[2:3] op_sel_hi:[1,0]
	v_pk_fma_f32 v[22:23], v[22:23], s[0:1], v[26:27] op_sel_hi:[1,0,1]
	v_pk_add_f32 v[6:7], v[8:9], v[6:7]
	v_add_f32_e32 v18, v21, v18
	v_pk_fma_f32 v[0:1], v[0:1], s[2:3], v[22:23] op_sel_hi:[1,0,1]
	v_mov_b32_e32 v21, v30
	v_mov_b32_e32 v22, v12
	;; [unrolled: 1-line block ×3, first 2 shown]
	v_pk_add_f32 v[6:7], v[6:7], v[12:13]
	v_pk_add_f32 v[22:23], v[20:21], v[22:23] neg_lo:[0,1] neg_hi:[0,1]
	v_mad_u32_u24 v25, v19, 20, 0
	v_mov_b32_e32 v7, v23
	v_mov_b32_e32 v22, v13
	;; [unrolled: 1-line block ×3, first 2 shown]
	v_pk_add_f32 v[6:7], v[22:23], v[6:7]
	ds_write2_b32 v25, v6, v7 offset1:1
	ds_write_b32 v25, v18 offset:8
	ds_write2_b32 v25, v1, v0 offset0:3 offset1:4
	v_lshlrev_b32_e32 v6, 4, v19
	v_sub_u32_e32 v21, 0, v6
	v_sub_u32_e32 v6, v25, v6
	s_waitcnt lgkmcnt(0)
	s_barrier
	ds_read_b32 v18, v6
	ds_read_b32 v20, v6 offset:1620
	ds_read_b32 v7, v6 offset:3240
	s_movk_i32 s0, 0xa2
	s_movk_i32 s2, 0xa1
	v_cmp_gt_u32_e64 s[0:1], s0, v19
	v_cmp_lt_u32_e64 s[2:3], s2, v19
                                        ; implicit-def: $vgpr6
	s_and_saveexec_b64 s[4:5], s[2:3]
	s_xor_b64 s[4:5], exec, s[4:5]
; %bb.14:
	v_mov_b32_e32 v6, v1
; %bb.15:
	s_or_saveexec_b64 s[4:5], s[4:5]
	v_add_u32_e32 v22, v25, v21
	v_lshl_add_u32 v23, v24, 2, 0
                                        ; implicit-def: $vgpr21
	s_xor_b64 exec, exec, s[4:5]
	s_cbranch_execz .LBB0_17
; %bb.16:
	ds_read_b32 v1, v23
	ds_read_b32 v0, v22 offset:2592
	ds_read_b32 v21, v22 offset:4212
	s_waitcnt lgkmcnt(2)
	v_mov_b32_e32 v6, v1
.LBB0_17:
	s_or_b64 exec, exec, s[4:5]
	v_pk_add_f32 v[28:29], v[10:11], v[14:15]
	v_pk_add_f32 v[8:9], v[8:9], v[12:13] neg_lo:[0,1] neg_hi:[0,1]
	s_mov_b32 s4, 0x3f737871
	v_pk_add_f32 v[26:27], v[14:15], v[16:17]
	v_pk_fma_f32 v[16:17], -0.5, v[28:29], v[16:17] op_sel:[0,0,1] op_sel_hi:[0,1,1]
	v_pk_mul_f32 v[28:29], v[8:9], s[4:5] op_sel_hi:[1,0]
	s_mov_b32 s12, 0x3f167918
	v_pk_add_f32 v[12:13], v[14:15], v[14:15] op_sel:[0,1] op_sel_hi:[1,0] neg_lo:[0,1] neg_hi:[0,1]
	v_pk_add_f32 v[30:31], v[10:11], v[10:11] op_sel:[0,1] op_sel_hi:[1,0] neg_lo:[0,1] neg_hi:[0,1]
	v_pk_mul_f32 v[32:33], v[8:9], s[12:13] op_sel_hi:[1,0]
	v_mov_b32_e32 v15, v29
	v_mov_b32_e32 v26, v27
	;; [unrolled: 1-line block ×3, first 2 shown]
	v_pk_add_f32 v[14:15], v[14:15], v[26:27]
	v_mov_b32_e32 v26, v10
	v_mov_b32_e32 v27, v32
	v_pk_add_f32 v[12:13], v[30:31], v[12:13]
	s_mov_b32 s12, 0x3e9e377a
	v_pk_add_f32 v[14:15], v[26:27], v[14:15]
	v_pk_mul_f32 v[26:27], v[12:13], s[12:13] op_sel_hi:[1,0]
	v_mov_b32_e32 v10, v11
	v_mov_b32_e32 v11, v27
	v_pk_add_f32 v[14:15], v[10:11], v[14:15]
	v_pk_fma_f32 v[10:11], v[8:9], s[4:5], v[16:17] op_sel:[0,0,1] op_sel_hi:[1,0,0]
	v_pk_fma_f32 v[8:9], v[8:9], s[4:5], v[16:17] op_sel:[0,0,1] op_sel_hi:[1,0,0] neg_lo:[1,0,0] neg_hi:[1,0,0]
	s_waitcnt lgkmcnt(0)
	v_mov_b32_e32 v11, v9
	v_add_f32_e32 v8, v33, v8
	v_pk_add_f32 v[10:11], v[10:11], v[32:33] op_sel:[0,1] op_sel_hi:[1,0] neg_lo:[0,1] neg_hi:[0,1]
	v_add_f32_e32 v8, v26, v8
	v_pk_fma_f32 v[10:11], v[12:13], s[12:13], v[10:11] op_sel_hi:[1,0,1]
	s_barrier
	ds_write2_b32 v25, v14, v15 offset1:1
	ds_write_b32 v25, v8 offset:8
	ds_write2_b32 v25, v10, v11 offset0:3 offset1:4
	s_waitcnt lgkmcnt(0)
	s_barrier
	ds_read_b32 v16, v22
	ds_read_b32 v9, v22 offset:1620
	ds_read_b32 v8, v22 offset:3240
	s_and_saveexec_b64 s[4:5], s[2:3]
	s_xor_b64 s[4:5], exec, s[4:5]
	s_or_saveexec_b64 s[4:5], s[4:5]
                                        ; implicit-def: $vgpr12
	s_xor_b64 exec, exec, s[4:5]
	s_cbranch_execz .LBB0_19
; %bb.18:
	ds_read_b32 v10, v23
	ds_read_b32 v11, v22 offset:2592
	ds_read_b32 v12, v22 offset:4212
.LBB0_19:
	s_or_b64 exec, exec, s[4:5]
	s_movk_i32 s4, 0xcd
	v_mul_lo_u16_sdwa v13, v19, s4 dst_sel:DWORD dst_unused:UNUSED_PAD src0_sel:BYTE_0 src1_sel:DWORD
	v_lshrrev_b16_e32 v13, 10, v13
	v_mul_lo_u16_e32 v14, 5, v13
	s_mov_b32 s4, 0xcccd
	v_sub_u16_e32 v25, v19, v14
	v_mov_b32_e32 v14, 4
	v_mul_u32_u24_sdwa v15, v24, s4 dst_sel:DWORD dst_unused:UNUSED_PAD src0_sel:WORD_0 src1_sel:DWORD
	v_lshlrev_b32_sdwa v14, v14, v25 dst_sel:DWORD dst_unused:UNUSED_PAD src0_sel:DWORD src1_sel:BYTE_0
	v_lshrrev_b32_e32 v30, 18, v15
	global_load_dwordx4 v[32:35], v14, s[8:9]
	v_mul_lo_u16_e32 v14, 5, v30
	v_sub_u16_e32 v17, v24, v14
	v_lshlrev_b32_e32 v14, 4, v17
	global_load_dwordx4 v[36:39], v14, s[8:9]
	v_mov_b32_e32 v26, 2
	v_mul_u32_u24_e32 v13, 60, v13
	v_lshlrev_b32_sdwa v25, v26, v25 dst_sel:DWORD dst_unused:UNUSED_PAD src0_sel:DWORD src1_sel:BYTE_0
	v_add3_u32 v25, 0, v13, v25
	v_mov_b32_e32 v14, 0x3f5db3d7
	v_mov_b32_e32 v15, v1
	s_waitcnt lgkmcnt(0)
	s_barrier
	s_waitcnt vmcnt(1)
	v_mul_f32_e32 v26, v9, v33
	v_mul_f32_e32 v13, v20, v33
	;; [unrolled: 1-line block ×4, first 2 shown]
	s_waitcnt vmcnt(0)
	v_mul_f32_e32 v40, v11, v37
	v_mul_f32_e32 v42, v12, v39
	;; [unrolled: 1-line block ×5, first 2 shown]
	v_fmac_f32_e32 v26, v20, v32
	v_fmac_f32_e32 v40, v0, v36
	;; [unrolled: 1-line block ×3, first 2 shown]
	v_fma_f32 v28, v9, v32, -v13
	v_fmac_f32_e32 v27, v7, v34
	v_fma_f32 v29, v8, v34, -v29
	v_fma_f32 v11, v12, v38, -v11
	v_add_f32_e32 v8, v18, v26
	v_pk_add_f32 v[12:13], v[40:41], v[42:43] neg_lo:[0,1] neg_hi:[0,1]
	v_mov_b32_e32 v9, v40
	v_add_f32_e32 v32, v8, v27
	v_sub_f32_e32 v8, v13, v11
	v_add_f32_e32 v20, v26, v27
	v_add_f32_e32 v31, v40, v42
	v_pk_mul_f32 v[14:15], v[14:15], v[8:9]
	v_pk_add_f32 v[0:1], v[0:1], v[8:9]
	v_sub_f32_e32 v21, v28, v29
	v_mov_b32_e32 v7, v42
	v_fmac_f32_e32 v18, -0.5, v20
	v_fmac_f32_e32 v6, -0.5, v31
	v_mov_b32_e32 v15, v1
	v_fmamk_f32 v20, v21, 0xbf5db3d7, v18
	v_fmac_f32_e32 v18, 0x3f5db3d7, v21
	v_pk_add_f32 v[8:9], v[14:15], v[6:7]
	ds_write2_b32 v25, v32, v20 offset1:5
	ds_write_b32 v25, v18 offset:40
                                        ; implicit-def: $vgpr0
	s_and_saveexec_b64 s[4:5], s[2:3]
	s_xor_b64 s[4:5], exec, s[4:5]
; %bb.20:
	v_mov_b32_e32 v0, v9
; %bb.21:
	s_or_saveexec_b64 s[4:5], s[4:5]
	v_sub_f32_e32 v1, v6, v14
	v_mul_lo_u16_e32 v20, 15, v30
	v_lshlrev_b32_e32 v21, 2, v17
	s_xor_b64 exec, exec, s[4:5]
	s_cbranch_execz .LBB0_23
; %bb.22:
	v_lshlrev_b32_e32 v0, 2, v20
	v_add3_u32 v0, 0, v21, v0
	ds_write2_b32 v0, v9, v1 offset1:5
	ds_write_b32 v0, v8 offset:40
	v_mov_b32_e32 v0, v9
.LBB0_23:
	s_or_b64 exec, exec, s[4:5]
	s_waitcnt lgkmcnt(0)
	s_barrier
	ds_read_b32 v18, v22
	ds_read_b32 v17, v22 offset:1620
	ds_read_b32 v7, v22 offset:3240
	s_and_saveexec_b64 s[4:5], s[2:3]
	s_xor_b64 s[4:5], exec, s[4:5]
; %bb.24:
	v_mov_b32_e32 v9, v0
; %bb.25:
	s_andn2_saveexec_b64 s[4:5], s[4:5]
	s_cbranch_execz .LBB0_27
; %bb.26:
	ds_read_b32 v9, v23
	ds_read_b32 v1, v22 offset:2592
	ds_read_b32 v8, v22 offset:4212
	s_waitcnt lgkmcnt(2)
	v_mov_b32_e32 v0, v9
.LBB0_27:
	s_or_b64 exec, exec, s[4:5]
	v_add_f32_e32 v14, v28, v29
	v_add_f32_e32 v6, v16, v28
	v_fmac_f32_e32 v16, -0.5, v14
	v_sub_f32_e32 v14, v26, v27
	v_fmamk_f32 v28, v14, 0x3f5db3d7, v16
	v_fmamk_f32 v16, v14, 0xbf5db3d7, v16
	v_mov_b32_e32 v14, 0x3f5db3d7
	v_mov_b32_e32 v15, v10
	v_pk_add_f32 v[26:27], v[14:15], v[12:13]
	v_pk_mul_f32 v[14:15], v[14:15], v[12:13]
	v_add_f32_e32 v12, v13, v11
	v_mov_b32_e32 v15, v27
	v_fmac_f32_e32 v10, -0.5, v12
	v_add_f32_e32 v6, v6, v29
	v_pk_add_f32 v[12:13], v[14:15], v[10:11]
	s_waitcnt lgkmcnt(0)
	s_barrier
	ds_write2_b32 v25, v6, v28 offset1:5
	ds_write_b32 v25, v16 offset:40
                                        ; implicit-def: $vgpr6
	s_and_saveexec_b64 s[4:5], s[2:3]
	s_xor_b64 s[4:5], exec, s[4:5]
; %bb.28:
	v_mov_b32_e32 v6, v13
                                        ; implicit-def: $vgpr20
                                        ; implicit-def: $vgpr21
; %bb.29:
	s_or_saveexec_b64 s[4:5], s[4:5]
	v_sub_f32_e32 v10, v10, v14
	s_xor_b64 exec, exec, s[4:5]
	s_cbranch_execz .LBB0_31
; %bb.30:
	v_lshlrev_b32_e32 v6, 2, v20
	v_add3_u32 v6, 0, v21, v6
	ds_write2_b32 v6, v13, v12 offset1:5
	ds_write_b32 v6, v10 offset:40
	v_mov_b32_e32 v6, v13
.LBB0_31:
	s_or_b64 exec, exec, s[4:5]
	s_waitcnt lgkmcnt(0)
	s_barrier
	ds_read_b32 v20, v22
	ds_read_b32 v14, v22 offset:1620
	ds_read_b32 v11, v22 offset:3240
	s_and_saveexec_b64 s[4:5], s[2:3]
	s_xor_b64 s[4:5], exec, s[4:5]
; %bb.32:
	v_mov_b32_e32 v13, v6
; %bb.33:
	s_andn2_saveexec_b64 s[4:5], s[4:5]
	s_cbranch_execz .LBB0_35
; %bb.34:
	ds_read_b32 v13, v23
	ds_read_b32 v12, v22 offset:2592
	ds_read_b32 v10, v22 offset:4212
	s_waitcnt lgkmcnt(2)
	v_mov_b32_e32 v6, v13
.LBB0_35:
	s_or_b64 exec, exec, s[4:5]
	s_movk_i32 s4, 0x89
	v_mul_lo_u16_sdwa v15, v19, s4 dst_sel:DWORD dst_unused:UNUSED_PAD src0_sel:BYTE_0 src1_sel:DWORD
	v_lshrrev_b16_e32 v15, 11, v15
	v_mul_lo_u16_e32 v16, 15, v15
	s_mov_b32 s4, 0x8889
	v_sub_u16_e32 v16, v19, v16
	v_mov_b32_e32 v21, 4
	v_mul_u32_u24_sdwa v25, v24, s4 dst_sel:DWORD dst_unused:UNUSED_PAD src0_sel:WORD_0 src1_sel:DWORD
	v_lshlrev_b32_sdwa v21, v21, v16 dst_sel:DWORD dst_unused:UNUSED_PAD src0_sel:DWORD src1_sel:BYTE_0
	v_lshrrev_b32_e32 v28, 19, v25
	global_load_dwordx4 v[30:33], v21, s[8:9] offset:80
	v_mul_lo_u16_e32 v21, 15, v28
	v_sub_u16_e32 v21, v24, v21
	v_lshlrev_b32_e32 v25, 4, v21
	global_load_dwordx4 v[34:37], v25, s[8:9] offset:80
	v_mov_b32_e32 v25, 2
	v_mul_u32_u24_e32 v15, 0xb4, v15
	v_lshlrev_b32_sdwa v16, v25, v16 dst_sel:DWORD dst_unused:UNUSED_PAD src0_sel:DWORD src1_sel:BYTE_0
	v_add3_u32 v25, 0, v15, v16
	v_mov_b32_e32 v38, 0x3f5db3d7
	v_mov_b32_e32 v39, v9
	s_waitcnt lgkmcnt(0)
	s_barrier
	s_waitcnt vmcnt(1)
	v_mul_f32_e32 v26, v14, v31
	v_mul_f32_e32 v27, v11, v33
	;; [unrolled: 1-line block ×4, first 2 shown]
	s_waitcnt vmcnt(0)
	v_mul_f32_e32 v40, v12, v35
	v_mul_f32_e32 v42, v10, v37
	;; [unrolled: 1-line block ×5, first 2 shown]
	v_fmac_f32_e32 v26, v17, v30
	v_fmac_f32_e32 v27, v7, v32
	;; [unrolled: 1-line block ×4, first 2 shown]
	v_fma_f32 v30, v14, v30, -v15
	v_fma_f32 v31, v11, v32, -v16
	;; [unrolled: 1-line block ×3, first 2 shown]
	v_add_f32_e32 v10, v18, v26
	v_add_f32_e32 v16, v26, v27
	v_pk_add_f32 v[14:15], v[40:41], v[42:43] neg_lo:[0,1] neg_hi:[0,1]
	v_sub_f32_e32 v17, v30, v31
	v_add_f32_e32 v29, v40, v42
	v_mov_b32_e32 v11, v40
	v_add_f32_e32 v32, v10, v27
	v_fmac_f32_e32 v18, -0.5, v16
	v_sub_f32_e32 v10, v15, v7
	v_fmac_f32_e32 v0, -0.5, v29
	v_fmamk_f32 v29, v17, 0xbf5db3d7, v18
	v_fmac_f32_e32 v18, 0x3f5db3d7, v17
	v_pk_mul_f32 v[16:17], v[38:39], v[10:11]
	v_pk_add_f32 v[8:9], v[8:9], v[10:11]
	v_mov_b32_e32 v1, v42
	v_mov_b32_e32 v17, v9
	v_pk_add_f32 v[10:11], v[16:17], v[0:1]
	ds_write2_b32 v25, v32, v29 offset1:15
	ds_write_b32 v25, v18 offset:120
                                        ; implicit-def: $vgpr8
	s_and_saveexec_b64 s[4:5], s[2:3]
	s_xor_b64 s[4:5], exec, s[4:5]
; %bb.36:
	v_mov_b32_e32 v8, v11
; %bb.37:
	s_or_saveexec_b64 s[4:5], s[4:5]
	v_sub_f32_e32 v1, v0, v16
	v_mul_lo_u16_e32 v28, 45, v28
	v_lshlrev_b32_e32 v29, 2, v21
	s_xor_b64 exec, exec, s[4:5]
	s_cbranch_execz .LBB0_39
; %bb.38:
	v_lshlrev_b32_e32 v0, 2, v28
	v_add3_u32 v0, 0, v29, v0
	v_mov_b32_e32 v8, v11
	ds_write2_b32 v0, v11, v1 offset1:15
	ds_write_b32 v0, v10 offset:120
.LBB0_39:
	s_or_b64 exec, exec, s[4:5]
	s_waitcnt lgkmcnt(0)
	s_barrier
	ds_read_b32 v18, v22
	ds_read_b32 v21, v22 offset:1620
	ds_read_b32 v9, v22 offset:3240
	s_and_saveexec_b64 s[4:5], s[2:3]
	s_xor_b64 s[4:5], exec, s[4:5]
; %bb.40:
	v_mov_b32_e32 v11, v8
; %bb.41:
	s_andn2_saveexec_b64 s[4:5], s[4:5]
	s_cbranch_execz .LBB0_43
; %bb.42:
	ds_read_b32 v11, v23
	ds_read_b32 v1, v22 offset:2592
	ds_read_b32 v10, v22 offset:4212
	s_waitcnt lgkmcnt(2)
	v_mov_b32_e32 v8, v11
.LBB0_43:
	s_or_b64 exec, exec, s[4:5]
	v_add_f32_e32 v16, v30, v31
	v_add_f32_e32 v0, v20, v30
	v_fmac_f32_e32 v20, -0.5, v16
	v_sub_f32_e32 v16, v26, v27
	v_fmamk_f32 v26, v16, 0x3f5db3d7, v20
	v_fmamk_f32 v20, v16, 0xbf5db3d7, v20
	v_mov_b32_e32 v16, 0x3f5db3d7
	v_mov_b32_e32 v17, v13
	v_pk_add_f32 v[12:13], v[12:13], v[14:15]
	v_pk_mul_f32 v[16:17], v[16:17], v[14:15]
	v_add_f32_e32 v12, v15, v7
	v_mov_b32_e32 v17, v13
	v_fmac_f32_e32 v6, -0.5, v12
	v_add_f32_e32 v0, v0, v31
	v_pk_add_f32 v[12:13], v[16:17], v[6:7]
	s_waitcnt lgkmcnt(0)
	s_barrier
	ds_write2_b32 v25, v0, v26 offset1:15
	ds_write_b32 v25, v20 offset:120
                                        ; implicit-def: $vgpr0
	s_and_saveexec_b64 s[4:5], s[2:3]
	s_xor_b64 s[4:5], exec, s[4:5]
; %bb.44:
	v_mov_b32_e32 v0, v13
                                        ; implicit-def: $vgpr28
                                        ; implicit-def: $vgpr29
; %bb.45:
	s_or_saveexec_b64 s[4:5], s[4:5]
	v_sub_f32_e32 v6, v6, v16
	s_xor_b64 exec, exec, s[4:5]
	s_cbranch_execz .LBB0_47
; %bb.46:
	v_lshlrev_b32_e32 v0, 2, v28
	v_add3_u32 v0, 0, v29, v0
	ds_write2_b32 v0, v13, v12 offset1:15
	ds_write_b32 v0, v6 offset:120
	v_mov_b32_e32 v0, v13
.LBB0_47:
	s_or_b64 exec, exec, s[4:5]
	s_waitcnt lgkmcnt(0)
	s_barrier
	ds_read_b32 v20, v22
	ds_read_b32 v14, v22 offset:1620
	ds_read_b32 v7, v22 offset:3240
	s_and_saveexec_b64 s[4:5], s[2:3]
	s_xor_b64 s[4:5], exec, s[4:5]
; %bb.48:
	v_mov_b32_e32 v13, v0
; %bb.49:
	s_andn2_saveexec_b64 s[4:5], s[4:5]
	s_cbranch_execz .LBB0_51
; %bb.50:
	ds_read_b32 v13, v23
	ds_read_b32 v12, v22 offset:2592
	ds_read_b32 v6, v22 offset:4212
	s_waitcnt lgkmcnt(2)
	v_mov_b32_e32 v0, v13
.LBB0_51:
	s_or_b64 exec, exec, s[4:5]
	s_movk_i32 s4, 0x6d
	v_mul_lo_u16_sdwa v15, v19, s4 dst_sel:DWORD dst_unused:UNUSED_PAD src0_sel:BYTE_0 src1_sel:DWORD
	v_sub_u16_sdwa v16, v19, v15 dst_sel:DWORD dst_unused:UNUSED_PAD src0_sel:DWORD src1_sel:BYTE_1
	v_lshrrev_b16_e32 v16, 1, v16
	v_and_b32_e32 v16, 0x7f, v16
	v_add_u16_sdwa v15, v16, v15 dst_sel:DWORD dst_unused:UNUSED_PAD src0_sel:DWORD src1_sel:BYTE_1
	v_lshrrev_b16_e32 v15, 5, v15
	v_mul_lo_u16_e32 v16, 45, v15
	s_movk_i32 s4, 0x2d83
	v_sub_u16_e32 v26, v19, v16
	v_mov_b32_e32 v16, 4
	v_mul_u32_u24_sdwa v17, v24, s4 dst_sel:DWORD dst_unused:UNUSED_PAD src0_sel:WORD_0 src1_sel:DWORD
	v_lshlrev_b32_sdwa v16, v16, v26 dst_sel:DWORD dst_unused:UNUSED_PAD src0_sel:DWORD src1_sel:BYTE_0
	v_lshrrev_b32_e32 v25, 19, v17
	global_load_dwordx4 v[30:33], v16, s[8:9] offset:320
	v_mul_lo_u16_e32 v16, 45, v25
	v_sub_u16_e32 v29, v24, v16
	v_lshlrev_b32_e32 v16, 4, v29
	global_load_dwordx4 v[34:37], v16, s[8:9] offset:320
	v_mov_b32_e32 v27, 2
	v_mul_u32_u24_e32 v15, 0x21c, v15
	v_lshlrev_b32_sdwa v26, v27, v26 dst_sel:DWORD dst_unused:UNUSED_PAD src0_sel:DWORD src1_sel:BYTE_0
	v_add3_u32 v26, 0, v15, v26
	v_mov_b32_e32 v16, 0x3f5db3d7
	v_mov_b32_e32 v17, v11
	s_waitcnt lgkmcnt(0)
	s_barrier
	s_waitcnt vmcnt(1)
	v_mul_f32_e32 v27, v14, v31
	v_mul_f32_e32 v15, v21, v31
	;; [unrolled: 1-line block ×4, first 2 shown]
	s_waitcnt vmcnt(0)
	v_mul_f32_e32 v38, v12, v35
	v_mul_f32_e32 v40, v6, v37
	;; [unrolled: 1-line block ×5, first 2 shown]
	v_fmac_f32_e32 v27, v21, v30
	v_fmac_f32_e32 v38, v1, v34
	v_fmac_f32_e32 v40, v10, v36
	v_fma_f32 v30, v14, v30, -v15
	v_fmac_f32_e32 v28, v9, v32
	v_fma_f32 v1, v6, v36, -v33
	v_add_f32_e32 v6, v18, v27
	v_pk_add_f32 v[14:15], v[38:39], v[40:41] neg_lo:[0,1] neg_hi:[0,1]
	v_fma_f32 v31, v7, v32, -v31
	v_mov_b32_e32 v7, v38
	v_add_f32_e32 v34, v6, v28
	v_sub_f32_e32 v6, v15, v1
	v_add_f32_e32 v21, v27, v28
	v_add_f32_e32 v33, v38, v40
	v_pk_mul_f32 v[16:17], v[16:17], v[6:7]
	v_pk_add_f32 v[6:7], v[10:11], v[6:7]
	v_sub_f32_e32 v32, v30, v31
	v_mov_b32_e32 v9, v40
	v_fmac_f32_e32 v18, -0.5, v21
	v_fmac_f32_e32 v8, -0.5, v33
	v_mov_b32_e32 v17, v7
	v_fmamk_f32 v21, v32, 0xbf5db3d7, v18
	v_fmac_f32_e32 v18, 0x3f5db3d7, v32
	v_pk_add_f32 v[6:7], v[16:17], v[8:9]
	ds_write2_b32 v26, v34, v21 offset1:45
	ds_write_b32 v26, v18 offset:360
                                        ; implicit-def: $vgpr10
	s_and_saveexec_b64 s[4:5], s[2:3]
	s_xor_b64 s[4:5], exec, s[4:5]
; %bb.52:
	v_mov_b32_e32 v10, v7
; %bb.53:
	s_or_saveexec_b64 s[4:5], s[4:5]
	v_sub_f32_e32 v9, v8, v16
	v_lshlrev_b32_e32 v29, 2, v29
	s_xor_b64 exec, exec, s[4:5]
	s_cbranch_execz .LBB0_55
; %bb.54:
	v_mul_lo_u16_e32 v8, 0x87, v25
	v_lshlrev_b32_e32 v8, 2, v8
	v_add3_u32 v8, 0, v29, v8
	v_mov_b32_e32 v10, v7
	ds_write2_b32 v8, v7, v9 offset1:45
	ds_write_b32 v8, v6 offset:360
.LBB0_55:
	s_or_b64 exec, exec, s[4:5]
	s_waitcnt lgkmcnt(0)
	s_barrier
	ds_read_b32 v18, v22
	ds_read_b32 v21, v22 offset:1620
	ds_read_b32 v11, v22 offset:3240
	s_and_saveexec_b64 s[4:5], s[2:3]
	s_xor_b64 s[4:5], exec, s[4:5]
; %bb.56:
	v_mov_b32_e32 v7, v10
; %bb.57:
	s_andn2_saveexec_b64 s[4:5], s[4:5]
	s_cbranch_execz .LBB0_59
; %bb.58:
	ds_read_b32 v7, v23
	ds_read_b32 v9, v22 offset:2592
	ds_read_b32 v6, v22 offset:4212
	s_waitcnt lgkmcnt(2)
	v_mov_b32_e32 v10, v7
.LBB0_59:
	s_or_b64 exec, exec, s[4:5]
	v_add_f32_e32 v16, v30, v31
	v_add_f32_e32 v8, v20, v30
	v_fmac_f32_e32 v20, -0.5, v16
	v_sub_f32_e32 v16, v27, v28
	v_fmamk_f32 v27, v16, 0x3f5db3d7, v20
	v_fmamk_f32 v20, v16, 0xbf5db3d7, v20
	v_mov_b32_e32 v16, 0x3f5db3d7
	v_mov_b32_e32 v17, v13
	v_pk_add_f32 v[12:13], v[12:13], v[14:15]
	v_pk_mul_f32 v[16:17], v[16:17], v[14:15]
	v_add_f32_e32 v12, v15, v1
	v_mov_b32_e32 v17, v13
	v_fmac_f32_e32 v0, -0.5, v12
	v_add_f32_e32 v8, v8, v31
	v_pk_add_f32 v[12:13], v[16:17], v[0:1]
	s_waitcnt lgkmcnt(0)
	s_barrier
	ds_write2_b32 v26, v8, v27 offset1:45
	ds_write_b32 v26, v20 offset:360
                                        ; implicit-def: $vgpr8
	s_and_saveexec_b64 s[4:5], s[2:3]
	s_xor_b64 s[4:5], exec, s[4:5]
; %bb.60:
	v_mov_b32_e32 v8, v13
                                        ; implicit-def: $vgpr25
                                        ; implicit-def: $vgpr29
; %bb.61:
	s_or_saveexec_b64 s[4:5], s[4:5]
	v_sub_f32_e32 v0, v0, v16
	s_xor_b64 exec, exec, s[4:5]
	s_cbranch_execz .LBB0_63
; %bb.62:
	v_mul_lo_u16_e32 v1, 0x87, v25
	v_lshlrev_b32_e32 v1, 2, v1
	v_add3_u32 v1, 0, v29, v1
	v_mov_b32_e32 v8, v13
	ds_write2_b32 v1, v13, v12 offset1:45
	ds_write_b32 v1, v0 offset:360
.LBB0_63:
	s_or_b64 exec, exec, s[4:5]
	s_waitcnt lgkmcnt(0)
	s_barrier
	ds_read_b32 v17, v22
	ds_read_b32 v14, v22 offset:1620
	ds_read_b32 v1, v22 offset:3240
	s_and_saveexec_b64 s[4:5], s[2:3]
	s_xor_b64 s[4:5], exec, s[4:5]
; %bb.64:
	v_mov_b32_e32 v13, v8
; %bb.65:
	s_andn2_saveexec_b64 s[4:5], s[4:5]
	s_cbranch_execz .LBB0_67
; %bb.66:
	ds_read_b32 v13, v23
	ds_read_b32 v12, v22 offset:2592
	ds_read_b32 v0, v22 offset:4212
	s_waitcnt lgkmcnt(2)
	v_mov_b32_e32 v8, v13
.LBB0_67:
	s_or_b64 exec, exec, s[4:5]
	s_movk_i32 s4, 0x87
	v_add_u32_e32 v15, 0xffffff79, v19
	v_cmp_gt_u32_e64 s[4:5], s4, v19
	v_mov_b32_e32 v27, 0
	v_mov_b32_e32 v38, 0x3f5db3d7
	v_cndmask_b32_e64 v15, v15, v19, s[4:5]
	s_movk_i32 s4, 0x795d
	v_mul_u32_u24_sdwa v16, v24, s4 dst_sel:DWORD dst_unused:UNUSED_PAD src0_sel:WORD_0 src1_sel:DWORD
	v_lshlrev_b32_e32 v26, 1, v15
	v_lshrrev_b32_e32 v25, 22, v16
	v_lshl_add_u64 v[26:27], v[26:27], 3, s[8:9]
	v_mul_lo_u16_e32 v16, 0x87, v25
	global_load_dwordx4 v[30:33], v[26:27], off offset:1040
	v_sub_u16_e32 v16, v24, v16
	v_lshlrev_b32_e32 v20, 4, v16
	global_load_dwordx4 v[34:37], v20, s[8:9] offset:1040
	s_movk_i32 s4, 0x86
	v_mov_b32_e32 v20, 0x654
	v_cmp_lt_u32_e64 s[4:5], s4, v19
	v_lshlrev_b32_e32 v15, 2, v15
	v_mov_b32_e32 v39, v7
	v_cndmask_b32_e64 v20, 0, v20, s[4:5]
	v_add3_u32 v26, 0, v20, v15
	s_waitcnt lgkmcnt(0)
	s_barrier
	s_waitcnt vmcnt(1)
	v_mul_f32_e32 v27, v14, v31
	v_mul_f32_e32 v28, v1, v33
	;; [unrolled: 1-line block ×4, first 2 shown]
	v_fmac_f32_e32 v27, v21, v30
	v_fmac_f32_e32 v28, v11, v32
	v_fma_f32 v29, v14, v30, -v15
	v_fma_f32 v30, v1, v32, -v20
	s_waitcnt vmcnt(0)
	v_mul_f32_e32 v14, v12, v35
	v_mul_f32_e32 v32, v0, v37
	v_add_f32_e32 v20, v27, v28
	v_mul_f32_e32 v15, v12, v34
	v_mul_f32_e32 v33, v9, v35
	;; [unrolled: 1-line block ×3, first 2 shown]
	v_add_f32_e32 v11, v18, v27
	v_sub_f32_e32 v21, v29, v30
	v_fmac_f32_e32 v14, v9, v34
	v_fmac_f32_e32 v32, v6, v36
	v_fmac_f32_e32 v18, -0.5, v20
	v_fma_f32 v9, v0, v36, -v1
	v_fmamk_f32 v34, v21, 0xbf5db3d7, v18
	v_fmac_f32_e32 v18, 0x3f5db3d7, v21
	v_add_f32_e32 v0, v14, v32
	v_pk_add_f32 v[20:21], v[14:15], v[32:33] neg_lo:[0,1] neg_hi:[0,1]
	v_mov_b32_e32 v1, v14
	v_fmac_f32_e32 v10, -0.5, v0
	v_sub_f32_e32 v0, v21, v9
	v_pk_mul_f32 v[14:15], v[38:39], v[0:1]
	v_pk_add_f32 v[0:1], v[6:7], v[0:1]
	v_add_f32_e32 v31, v11, v28
	v_mov_b32_e32 v11, v32
	v_mov_b32_e32 v15, v1
	v_pk_add_f32 v[0:1], v[14:15], v[10:11]
	ds_write2_b32 v26, v31, v34 offset1:135
	ds_write_b32 v26, v18 offset:1080
	s_and_saveexec_b64 s[4:5], s[2:3]
	s_xor_b64 s[4:5], exec, s[4:5]
	s_or_saveexec_b64 s[4:5], s[4:5]
	v_sub_f32_e32 v6, v10, v14
	v_lshlrev_b32_e32 v7, 2, v16
	s_xor_b64 exec, exec, s[4:5]
	s_cbranch_execz .LBB0_69
; %bb.68:
	v_mul_lo_u16_e32 v10, 0x195, v25
	v_lshlrev_b32_e32 v10, 2, v10
	v_add3_u32 v10, 0, v7, v10
	ds_write2_b32 v10, v1, v6 offset1:135
	ds_write_b32 v10, v0 offset:1080
.LBB0_69:
	s_or_b64 exec, exec, s[4:5]
	s_waitcnt lgkmcnt(0)
	s_barrier
	ds_read_b32 v14, v22
	ds_read_b32 v18, v22 offset:1620
	ds_read_b32 v16, v22 offset:3240
	s_and_saveexec_b64 s[4:5], s[2:3]
	s_xor_b64 s[4:5], exec, s[4:5]
	s_andn2_saveexec_b64 s[4:5], s[4:5]
	s_cbranch_execz .LBB0_71
; %bb.70:
	ds_read_b32 v1, v23
	ds_read_b32 v6, v22 offset:2592
	ds_read_b32 v0, v22 offset:4212
.LBB0_71:
	s_or_b64 exec, exec, s[4:5]
	v_add_f32_e32 v10, v17, v29
	v_add_f32_e32 v15, v10, v30
	v_add_f32_e32 v10, v29, v30
	v_fmac_f32_e32 v17, -0.5, v10
	v_sub_f32_e32 v10, v27, v28
	v_fmamk_f32 v27, v10, 0x3f5db3d7, v17
	v_fmamk_f32 v17, v10, 0xbf5db3d7, v17
	v_mov_b32_e32 v10, 0x3f5db3d7
	v_mov_b32_e32 v11, v13
	v_pk_add_f32 v[28:29], v[12:13], v[20:21]
	v_pk_mul_f32 v[12:13], v[10:11], v[20:21]
	v_add_f32_e32 v10, v21, v9
	v_mov_b32_e32 v13, v29
	v_fmac_f32_e32 v8, -0.5, v10
	v_pk_add_f32 v[10:11], v[12:13], v[8:9]
	s_waitcnt lgkmcnt(0)
	s_barrier
	ds_write2_b32 v26, v15, v27 offset1:135
	ds_write_b32 v26, v17 offset:1080
	s_and_saveexec_b64 s[4:5], s[2:3]
	s_xor_b64 s[4:5], exec, s[4:5]
; %bb.72:
                                        ; implicit-def: $vgpr25
                                        ; implicit-def: $vgpr7
; %bb.73:
	s_or_saveexec_b64 s[4:5], s[4:5]
	v_sub_f32_e32 v8, v8, v12
	s_xor_b64 exec, exec, s[4:5]
	s_cbranch_execz .LBB0_75
; %bb.74:
	v_mul_lo_u16_e32 v9, 0x195, v25
	v_lshlrev_b32_e32 v9, 2, v9
	v_add3_u32 v7, 0, v7, v9
	ds_write2_b32 v7, v11, v10 offset1:135
	ds_write_b32 v7, v8 offset:1080
.LBB0_75:
	s_or_b64 exec, exec, s[4:5]
	s_waitcnt lgkmcnt(0)
	s_barrier
	ds_read_b32 v15, v22
	ds_read_b32 v12, v22 offset:1620
	ds_read_b32 v20, v22 offset:3240
	s_and_saveexec_b64 s[4:5], s[2:3]
	s_xor_b64 s[2:3], exec, s[4:5]
	s_cbranch_execnz .LBB0_79
; %bb.76:
	s_andn2_saveexec_b64 s[2:3], s[2:3]
	s_cbranch_execnz .LBB0_80
.LBB0_77:
	s_or_b64 exec, exec, s[2:3]
	s_and_saveexec_b64 s[2:3], vcc
	s_cbranch_execnz .LBB0_81
.LBB0_78:
	s_endpgm
.LBB0_79:
                                        ; implicit-def: $vgpr23
                                        ; implicit-def: $vgpr22
	s_andn2_saveexec_b64 s[2:3], s[2:3]
	s_cbranch_execz .LBB0_77
.LBB0_80:
	ds_read_b32 v11, v23
	ds_read_b32 v10, v22 offset:2592
	ds_read_b32 v8, v22 offset:4212
	s_or_b64 exec, exec, s[2:3]
	s_and_saveexec_b64 s[2:3], vcc
	s_cbranch_execz .LBB0_78
.LBB0_81:
	v_lshlrev_b32_e32 v22, 1, v19
	v_mov_b32_e32 v23, 0
	v_lshl_add_u64 v[26:27], v[22:23], 3, s[8:9]
	global_load_dwordx4 v[26:29], v[26:27], off offset:3200
	v_mad_u64_u32 v[30:31], s[2:3], s10, v4, 0
	v_mul_lo_u32 v7, s11, v4
	v_mul_lo_u32 v5, s10, v5
	s_mov_b32 s3, 0x50e89cc3
	v_add3_u32 v31, v31, v5, v7
	v_mul_hi_u32 v5, v19, s3
	v_lshrrev_b32_e32 v5, 7, v5
	v_mul_u32_u24_e32 v5, 0x195, v5
	v_lshl_add_u64 v[30:31], v[30:31], 3, s[6:7]
	v_sub_u32_e32 v5, v19, v5
	v_lshl_add_u64 v[2:3], v[2:3], 3, v[30:31]
	v_mad_u64_u32 v[30:31], s[4:5], s16, v5, 0
	v_add_u32_e32 v7, 0x195, v5
	v_mov_b32_e32 v22, v31
	v_mad_u64_u32 v[32:33], s[4:5], s16, v7, 0
	v_mad_u64_u32 v[36:37], s[4:5], s17, v5, v[22:23]
	v_mov_b32_e32 v22, v33
	v_mov_b32_e32 v31, v36
	v_mad_u64_u32 v[36:37], s[4:5], s17, v7, v[22:23]
	v_mov_b32_e32 v33, v36
	v_add_u32_e32 v9, 0x32a, v5
	s_mov_b32 s2, 0x3f5db3d7
	v_mad_u64_u32 v[34:35], s[4:5], s16, v9, 0
	v_mov_b32_e32 v38, v35
	s_movk_i32 s10, 0x195
	v_add_u32_e32 v4, 0xf3, v19
	v_mad_u64_u32 v[38:39], s[4:5], s17, v9, v[38:39]
	v_lshl_add_u64 v[30:31], v[30:31], 3, v[2:3]
	v_mov_b32_e32 v35, v38
	v_lshl_add_u64 v[32:33], v[32:33], 3, v[2:3]
	v_cmp_gt_u32_e32 vcc, s10, v4
	v_lshl_add_u64 v[34:35], v[34:35], 3, v[2:3]
	s_waitcnt vmcnt(0) lgkmcnt(1)
	v_pk_mul_f32 v[12:13], v[12:13], v[26:27] op_sel_hi:[0,1]
	s_waitcnt lgkmcnt(0)
	v_pk_mul_f32 v[20:21], v[20:21], v[28:29] op_sel_hi:[0,1]
	v_pk_fma_f32 v[36:37], v[18:19], v[26:27], v[12:13] op_sel:[0,0,1] op_sel_hi:[1,1,0]
	v_pk_fma_f32 v[12:13], v[18:19], v[26:27], v[12:13] op_sel:[0,0,1] op_sel_hi:[0,1,0] neg_lo:[1,0,0] neg_hi:[1,0,0]
	v_pk_fma_f32 v[26:27], v[16:17], v[28:29], v[20:21] op_sel:[0,0,1] op_sel_hi:[1,1,0]
	v_pk_fma_f32 v[16:17], v[16:17], v[28:29], v[20:21] op_sel:[0,0,1] op_sel_hi:[0,1,0] neg_lo:[1,0,0] neg_hi:[1,0,0]
	v_mov_b32_e32 v37, v13
	v_mov_b32_e32 v27, v17
	v_pk_add_f32 v[12:13], v[36:37], v[26:27]
	v_pk_add_f32 v[16:17], v[36:37], v[26:27] neg_lo:[0,1] neg_hi:[0,1]
	v_pk_add_f32 v[20:21], v[14:15], v[36:37]
	v_pk_fma_f32 v[12:13], -0.5, v[12:13], v[14:15] op_sel_hi:[0,1,1]
	v_pk_mul_f32 v[14:15], v[16:17], s[2:3] op_sel_hi:[1,0]
	v_pk_add_f32 v[16:17], v[20:21], v[26:27]
	v_pk_add_f32 v[20:21], v[12:13], v[14:15] op_sel:[0,1] op_sel_hi:[1,0]
	v_pk_add_f32 v[12:13], v[12:13], v[14:15] op_sel:[0,1] op_sel_hi:[1,0] neg_lo:[0,1] neg_hi:[0,1]
	v_mov_b32_e32 v15, v21
	v_mov_b32_e32 v14, v12
	global_store_dwordx2 v[30:31], v[16:17], off
	v_mov_b32_e32 v21, v13
	global_store_dwordx2 v[32:33], v[14:15], off
	global_store_dwordx2 v[34:35], v[20:21], off
	s_and_b64 exec, exec, vcc
	s_cbranch_execz .LBB0_78
; %bb.82:
	v_add_u32_e32 v5, 0xffffff5e, v19
	v_cndmask_b32_e64 v5, v5, v24, s[0:1]
	v_lshlrev_b32_e32 v22, 1, v5
	v_lshl_add_u64 v[12:13], v[22:23], 3, s[8:9]
	global_load_dwordx4 v[12:15], v[12:13], off offset:3200
	v_mad_u64_u32 v[16:17], s[0:1], s16, v4, 0
	v_add_u32_e32 v7, 0x288, v19
	v_add_u32_e32 v9, 0x41d, v19
	v_mov_b32_e32 v18, v17
	v_mad_u64_u32 v[20:21], s[0:1], s16, v7, 0
	v_mad_u64_u32 v[22:23], s[0:1], s16, v9, 0
	;; [unrolled: 1-line block ×3, first 2 shown]
	v_mov_b32_e32 v18, v21
	v_mov_b32_e32 v24, v23
	;; [unrolled: 1-line block ×3, first 2 shown]
	v_mad_u64_u32 v[4:5], s[0:1], s17, v7, v[18:19]
	v_mad_u64_u32 v[18:19], s[0:1], s17, v9, v[24:25]
	v_mov_b32_e32 v21, v4
	v_mov_b32_e32 v23, v18
	v_lshl_add_u64 v[4:5], v[20:21], 3, v[2:3]
	v_lshl_add_u64 v[16:17], v[16:17], 3, v[2:3]
	;; [unrolled: 1-line block ×3, first 2 shown]
	s_waitcnt vmcnt(0)
	v_pk_mul_f32 v[18:19], v[10:11], v[12:13] op_sel_hi:[0,1]
	v_pk_mul_f32 v[8:9], v[8:9], v[14:15] op_sel_hi:[0,1]
	v_mov_b32_e32 v10, v1
	v_pk_fma_f32 v[20:21], v[6:7], v[12:13], v[18:19] op_sel:[0,0,1] op_sel_hi:[1,1,0]
	v_pk_fma_f32 v[6:7], v[6:7], v[12:13], v[18:19] op_sel:[0,0,1] op_sel_hi:[0,1,0] neg_lo:[1,0,0] neg_hi:[1,0,0]
	v_pk_fma_f32 v[12:13], v[0:1], v[14:15], v[8:9] op_sel:[0,0,1] op_sel_hi:[1,1,0]
	v_pk_fma_f32 v[0:1], v[0:1], v[14:15], v[8:9] op_sel:[0,0,1] op_sel_hi:[0,1,0] neg_lo:[1,0,0] neg_hi:[1,0,0]
	v_mov_b32_e32 v21, v7
	v_mov_b32_e32 v13, v1
	v_pk_add_f32 v[0:1], v[20:21], v[12:13]
	v_pk_add_f32 v[6:7], v[20:21], v[12:13] neg_lo:[0,1] neg_hi:[0,1]
	v_pk_fma_f32 v[0:1], -0.5, v[0:1], v[10:11] op_sel_hi:[0,1,1]
	v_pk_mul_f32 v[6:7], v[6:7], s[2:3] op_sel_hi:[1,0]
	v_pk_add_f32 v[8:9], v[10:11], v[20:21]
	v_pk_add_f32 v[10:11], v[0:1], v[6:7] op_sel:[0,1] op_sel_hi:[1,0] neg_lo:[0,1] neg_hi:[0,1]
	v_pk_add_f32 v[0:1], v[0:1], v[6:7] op_sel:[0,1] op_sel_hi:[1,0]
	v_pk_add_f32 v[8:9], v[8:9], v[12:13]
	v_mov_b32_e32 v6, v10
	v_mov_b32_e32 v7, v1
	global_store_dwordx2 v[16:17], v[8:9], off
	v_mov_b32_e32 v1, v11
	global_store_dwordx2 v[4:5], v[6:7], off
	global_store_dwordx2 v[2:3], v[0:1], off
	s_endpgm
	.section	.rodata,"a",@progbits
	.p2align	6, 0x0
	.amdhsa_kernel fft_rtc_back_len1215_factors_5_3_3_3_3_3_wgs_243_tpt_243_halfLds_sp_op_CI_CI_sbrr_dirReg
		.amdhsa_group_segment_fixed_size 0
		.amdhsa_private_segment_fixed_size 0
		.amdhsa_kernarg_size 104
		.amdhsa_user_sgpr_count 2
		.amdhsa_user_sgpr_dispatch_ptr 0
		.amdhsa_user_sgpr_queue_ptr 0
		.amdhsa_user_sgpr_kernarg_segment_ptr 1
		.amdhsa_user_sgpr_dispatch_id 0
		.amdhsa_user_sgpr_kernarg_preload_length 0
		.amdhsa_user_sgpr_kernarg_preload_offset 0
		.amdhsa_user_sgpr_private_segment_size 0
		.amdhsa_uses_dynamic_stack 0
		.amdhsa_enable_private_segment 0
		.amdhsa_system_sgpr_workgroup_id_x 1
		.amdhsa_system_sgpr_workgroup_id_y 0
		.amdhsa_system_sgpr_workgroup_id_z 0
		.amdhsa_system_sgpr_workgroup_info 0
		.amdhsa_system_vgpr_workitem_id 0
		.amdhsa_next_free_vgpr 44
		.amdhsa_next_free_sgpr 32
		.amdhsa_accum_offset 44
		.amdhsa_reserve_vcc 1
		.amdhsa_float_round_mode_32 0
		.amdhsa_float_round_mode_16_64 0
		.amdhsa_float_denorm_mode_32 3
		.amdhsa_float_denorm_mode_16_64 3
		.amdhsa_dx10_clamp 1
		.amdhsa_ieee_mode 1
		.amdhsa_fp16_overflow 0
		.amdhsa_tg_split 0
		.amdhsa_exception_fp_ieee_invalid_op 0
		.amdhsa_exception_fp_denorm_src 0
		.amdhsa_exception_fp_ieee_div_zero 0
		.amdhsa_exception_fp_ieee_overflow 0
		.amdhsa_exception_fp_ieee_underflow 0
		.amdhsa_exception_fp_ieee_inexact 0
		.amdhsa_exception_int_div_zero 0
	.end_amdhsa_kernel
	.text
.Lfunc_end0:
	.size	fft_rtc_back_len1215_factors_5_3_3_3_3_3_wgs_243_tpt_243_halfLds_sp_op_CI_CI_sbrr_dirReg, .Lfunc_end0-fft_rtc_back_len1215_factors_5_3_3_3_3_3_wgs_243_tpt_243_halfLds_sp_op_CI_CI_sbrr_dirReg
                                        ; -- End function
	.section	.AMDGPU.csdata,"",@progbits
; Kernel info:
; codeLenInByte = 6116
; NumSgprs: 38
; NumVgprs: 44
; NumAgprs: 0
; TotalNumVgprs: 44
; ScratchSize: 0
; MemoryBound: 0
; FloatMode: 240
; IeeeMode: 1
; LDSByteSize: 0 bytes/workgroup (compile time only)
; SGPRBlocks: 4
; VGPRBlocks: 5
; NumSGPRsForWavesPerEU: 38
; NumVGPRsForWavesPerEU: 44
; AccumOffset: 44
; Occupancy: 8
; WaveLimiterHint : 1
; COMPUTE_PGM_RSRC2:SCRATCH_EN: 0
; COMPUTE_PGM_RSRC2:USER_SGPR: 2
; COMPUTE_PGM_RSRC2:TRAP_HANDLER: 0
; COMPUTE_PGM_RSRC2:TGID_X_EN: 1
; COMPUTE_PGM_RSRC2:TGID_Y_EN: 0
; COMPUTE_PGM_RSRC2:TGID_Z_EN: 0
; COMPUTE_PGM_RSRC2:TIDIG_COMP_CNT: 0
; COMPUTE_PGM_RSRC3_GFX90A:ACCUM_OFFSET: 10
; COMPUTE_PGM_RSRC3_GFX90A:TG_SPLIT: 0
	.text
	.p2alignl 6, 3212836864
	.fill 256, 4, 3212836864
	.type	__hip_cuid_ff872310b62c7992,@object ; @__hip_cuid_ff872310b62c7992
	.section	.bss,"aw",@nobits
	.globl	__hip_cuid_ff872310b62c7992
__hip_cuid_ff872310b62c7992:
	.byte	0                               ; 0x0
	.size	__hip_cuid_ff872310b62c7992, 1

	.ident	"AMD clang version 19.0.0git (https://github.com/RadeonOpenCompute/llvm-project roc-6.4.0 25133 c7fe45cf4b819c5991fe208aaa96edf142730f1d)"
	.section	".note.GNU-stack","",@progbits
	.addrsig
	.addrsig_sym __hip_cuid_ff872310b62c7992
	.amdgpu_metadata
---
amdhsa.kernels:
  - .agpr_count:     0
    .args:
      - .actual_access:  read_only
        .address_space:  global
        .offset:         0
        .size:           8
        .value_kind:     global_buffer
      - .offset:         8
        .size:           8
        .value_kind:     by_value
      - .actual_access:  read_only
        .address_space:  global
        .offset:         16
        .size:           8
        .value_kind:     global_buffer
      - .actual_access:  read_only
        .address_space:  global
        .offset:         24
        .size:           8
        .value_kind:     global_buffer
      - .actual_access:  read_only
        .address_space:  global
        .offset:         32
        .size:           8
        .value_kind:     global_buffer
      - .offset:         40
        .size:           8
        .value_kind:     by_value
      - .actual_access:  read_only
        .address_space:  global
        .offset:         48
        .size:           8
        .value_kind:     global_buffer
      - .actual_access:  read_only
        .address_space:  global
        .offset:         56
        .size:           8
        .value_kind:     global_buffer
      - .offset:         64
        .size:           4
        .value_kind:     by_value
      - .actual_access:  read_only
        .address_space:  global
        .offset:         72
        .size:           8
        .value_kind:     global_buffer
      - .actual_access:  read_only
        .address_space:  global
        .offset:         80
        .size:           8
        .value_kind:     global_buffer
      - .actual_access:  read_only
        .address_space:  global
        .offset:         88
        .size:           8
        .value_kind:     global_buffer
      - .actual_access:  write_only
        .address_space:  global
        .offset:         96
        .size:           8
        .value_kind:     global_buffer
    .group_segment_fixed_size: 0
    .kernarg_segment_align: 8
    .kernarg_segment_size: 104
    .language:       OpenCL C
    .language_version:
      - 2
      - 0
    .max_flat_workgroup_size: 243
    .name:           fft_rtc_back_len1215_factors_5_3_3_3_3_3_wgs_243_tpt_243_halfLds_sp_op_CI_CI_sbrr_dirReg
    .private_segment_fixed_size: 0
    .sgpr_count:     38
    .sgpr_spill_count: 0
    .symbol:         fft_rtc_back_len1215_factors_5_3_3_3_3_3_wgs_243_tpt_243_halfLds_sp_op_CI_CI_sbrr_dirReg.kd
    .uniform_work_group_size: 1
    .uses_dynamic_stack: false
    .vgpr_count:     44
    .vgpr_spill_count: 0
    .wavefront_size: 64
amdhsa.target:   amdgcn-amd-amdhsa--gfx950
amdhsa.version:
  - 1
  - 2
...

	.end_amdgpu_metadata
